;; amdgpu-corpus repo=ROCm/rocFFT kind=compiled arch=gfx906 opt=O3
	.text
	.amdgcn_target "amdgcn-amd-amdhsa--gfx906"
	.amdhsa_code_object_version 6
	.protected	fft_rtc_fwd_len200_factors_8_5_5_wgs_400_tpt_40_sp_op_CI_CI_sbrc_z_xy_diag_dirReg ; -- Begin function fft_rtc_fwd_len200_factors_8_5_5_wgs_400_tpt_40_sp_op_CI_CI_sbrc_z_xy_diag_dirReg
	.globl	fft_rtc_fwd_len200_factors_8_5_5_wgs_400_tpt_40_sp_op_CI_CI_sbrc_z_xy_diag_dirReg
	.p2align	8
	.type	fft_rtc_fwd_len200_factors_8_5_5_wgs_400_tpt_40_sp_op_CI_CI_sbrc_z_xy_diag_dirReg,@function
fft_rtc_fwd_len200_factors_8_5_5_wgs_400_tpt_40_sp_op_CI_CI_sbrc_z_xy_diag_dirReg: ; @fft_rtc_fwd_len200_factors_8_5_5_wgs_400_tpt_40_sp_op_CI_CI_sbrc_z_xy_diag_dirReg
; %bb.0:
	s_load_dwordx8 s[8:15], s[4:5], 0x0
	v_mul_u32_u24_e32 v2, 0x148, v0
	v_lshrrev_b32_e32 v15, 16, v2
	v_mul_lo_u16_e32 v2, 0xc8, v15
	v_sub_u16_e32 v19, v0, v2
	s_waitcnt lgkmcnt(0)
	s_load_dwordx4 s[0:3], s[12:13], 0x8
	s_load_dwordx4 s[16:19], s[14:15], 0x0
	s_waitcnt lgkmcnt(0)
	s_load_dword s3, s[14:15], 0x10
	v_mov_b32_e32 v17, 0
	s_add_i32 s0, s0, -1
	s_mul_hi_u32 s0, s0, 0xcccccccd
	s_lshr_b32 s0, s0, 3
	s_add_i32 s0, s0, 1
	s_mul_i32 s2, s0, s2
	v_cvt_f32_u32_e32 v1, s2
	v_mul_lo_u32 v16, s18, v15
	v_rcp_iflag_f32_e32 v1, v1
	v_mul_f32_e32 v1, 0x4f7ffffe, v1
	v_cvt_u32_f32_e32 v3, v1
	v_mad_u64_u32 v[1:2], s[0:1], s16, v19, 0
	s_sub_i32 s0, 0, s2
	v_readfirstlane_b32 s1, v3
	s_mul_i32 s0, s0, s1
	s_mul_hi_u32 s0, s1, s0
	s_add_i32 s1, s1, s0
	s_mul_hi_u32 s0, s6, s1
	s_mul_i32 s1, s0, s2
	s_sub_i32 s1, s6, s1
	s_add_i32 s7, s0, 1
	s_sub_i32 s12, s1, s2
	s_cmp_ge_u32 s1, s2
	s_cselect_b32 s0, s7, s0
	s_cselect_b32 s1, s12, s1
	s_add_i32 s7, s0, 1
	s_cmp_ge_u32 s1, s2
	s_cselect_b32 s19, s7, s0
	s_mul_i32 s0, s19, s2
	s_sub_i32 s0, s6, s0
	s_mul_hi_u32 s1, s0, 0xcccccccd
	s_lshr_b32 s1, s1, 5
	s_mul_i32 s2, s1, 40
	s_sub_i32 s16, s0, s2
	s_add_i32 s1, s1, s16
	s_mul_hi_u32 s0, s1, 0x51eb851f
	s_lshr_b32 s0, s0, 6
	s_mulk_i32 s0, 0xc8
	s_mul_i32 s16, s16, 10
	s_sub_i32 s20, s1, s0
	s_mul_i32 s2, s16, s18
	s_waitcnt lgkmcnt(0)
	s_mul_i32 s0, s20, s3
	s_lshl_b64 s[12:13], s[10:11], 3
	s_add_i32 s10, s0, s2
	s_add_u32 s0, s14, s12
	s_addc_u32 s1, s15, s13
	s_load_dwordx2 s[6:7], s[0:1], 0x0
	s_nop 0
	s_load_dwordx4 s[0:3], s[4:5], 0x58
	s_load_dwordx2 s[14:15], s[4:5], 0x20
	v_mad_u64_u32 v[2:3], s[22:23], s17, v19, v[2:3]
	s_mov_b32 s11, 0
	s_waitcnt lgkmcnt(0)
	s_mul_i32 s4, s7, s19
	s_mul_hi_u32 s5, s6, s19
	s_add_i32 s5, s5, s4
	s_mul_i32 s4, s6, s19
	s_add_u32 s12, s14, s12
	s_addc_u32 s13, s15, s13
	s_lshl_b64 s[4:5], s[4:5], 3
	s_add_u32 s4, s0, s4
	s_addc_u32 s5, s1, s5
	s_lshl_b64 s[0:1], s[10:11], 3
	s_add_u32 s0, s4, s0
	v_lshlrev_b64 v[1:2], 3, v[1:2]
	s_addc_u32 s1, s5, s1
	v_mov_b32_e32 v3, s1
	v_add_co_u32_e32 v18, vcc, s0, v1
	v_addc_co_u32_e32 v20, vcc, v3, v2, vcc
	v_lshlrev_b64 v[1:2], 3, v[16:17]
	s_lshl_b32 s0, s18, 1
	v_add_u32_e32 v16, s0, v16
	v_add_co_u32_e32 v1, vcc, v18, v1
	v_lshlrev_b64 v[3:4], 3, v[16:17]
	v_addc_co_u32_e32 v2, vcc, v20, v2, vcc
	v_add_u32_e32 v16, s0, v16
	v_add_co_u32_e32 v3, vcc, v18, v3
	v_lshlrev_b64 v[5:6], 3, v[16:17]
	v_addc_co_u32_e32 v4, vcc, v20, v4, vcc
	;; [unrolled: 4-line block ×3, first 2 shown]
	v_add_co_u32_e32 v7, vcc, v18, v7
	v_add_u32_e32 v16, s0, v16
	v_addc_co_u32_e32 v8, vcc, v20, v8, vcc
	global_load_dwordx2 v[9:10], v[1:2], off
	global_load_dwordx2 v[11:12], v[3:4], off
	;; [unrolled: 1-line block ×4, first 2 shown]
	v_lshlrev_b64 v[1:2], 3, v[16:17]
	v_mul_u32_u24_e32 v3, 0x199a, v0
	v_add_co_u32_e32 v1, vcc, v18, v1
	v_addc_co_u32_e32 v2, vcc, v20, v2, vcc
	global_load_dwordx2 v[1:2], v[1:2], off
	v_lshrrev_b32_e32 v20, 16, v3
	s_movk_i32 s0, 0x50
	v_mul_lo_u16_e32 v3, 10, v20
	v_mad_u32_u24 v22, v20, s0, 0
	v_sub_u16_e32 v18, v0, v3
	v_mul_lo_u16_e32 v3, 10, v19
	v_lshlrev_b32_e32 v4, 3, v15
	v_lshl_add_u32 v19, v18, 3, v22
	v_lshlrev_b32_e32 v3, 3, v3
	v_add_u32_e32 v5, 0xf80, v19
	v_add_u32_e32 v15, 0x1f40, v19
	v_add3_u32 v6, 0, v3, v4
	v_add3_u32 v3, 0, v4, v3
	s_load_dwordx4 s[4:7], s[14:15], 0x0
	s_load_dwordx2 s[0:1], s[14:15], 0x10
	v_add_u32_e32 v21, 0x2ec0, v19
	s_load_dwordx2 s[12:13], s[12:13], 0x0
	s_waitcnt lgkmcnt(0)
	s_movk_i32 s1, 0xfa
	s_movk_i32 s17, 0xc8
	v_cmp_gt_u32_e32 vcc, s1, v0
	s_waitcnt vmcnt(4)
	ds_write_b64 v6, v[9:10]
	s_waitcnt vmcnt(2)
	ds_write2_b64 v3, v[11:12], v[13:14] offset0:2 offset1:4
	s_waitcnt vmcnt(0)
	ds_write2_b64 v3, v[23:24], v[1:2] offset0:6 offset1:8
	s_waitcnt lgkmcnt(0)
	s_barrier
	ds_read2_b64 v[1:4], v19 offset1:250
	ds_read2_b64 v[5:8], v5 offset0:4 offset1:254
	ds_read2_b64 v[13:16], v15 offset1:250
	ds_read2_b64 v[9:12], v21 offset0:4 offset1:254
	v_lshlrev_b32_e32 v21, 3, v18
	s_waitcnt lgkmcnt(0)
	s_barrier
	s_and_saveexec_b64 s[14:15], vcc
	s_cbranch_execz .LBB0_2
; %bb.1:
	v_sub_f32_e32 v14, v2, v14
	v_sub_f32_e32 v13, v1, v13
	v_sub_f32_e32 v9, v5, v9
	v_sub_f32_e32 v10, v6, v10
	v_sub_f32_e32 v15, v3, v15
	v_sub_f32_e32 v16, v4, v16
	v_sub_f32_e32 v12, v8, v12
	v_sub_f32_e32 v11, v7, v11
	v_fma_f32 v5, v5, 2.0, -v9
	v_fma_f32 v6, v6, 2.0, -v10
	v_add_f32_e32 v9, v14, v9
	v_sub_f32_e32 v10, v13, v10
	v_fma_f32 v7, v7, 2.0, -v11
	v_fma_f32 v8, v8, 2.0, -v12
	v_fma_f32 v24, v3, 2.0, -v15
	v_fma_f32 v25, v1, 2.0, -v13
	v_sub_f32_e32 v12, v15, v12
	v_add_f32_e32 v11, v16, v11
	v_fma_f32 v3, v14, 2.0, -v9
	v_fma_f32 v13, v13, 2.0, -v10
	;; [unrolled: 1-line block ×6, first 2 shown]
	v_mov_b32_e32 v2, v3
	v_mov_b32_e32 v1, v13
	v_fmac_f32_e32 v2, 0xbf3504f3, v14
	v_fmac_f32_e32 v1, 0xbf3504f3, v4
	v_fmac_f32_e32 v2, 0x3f3504f3, v4
	v_fmac_f32_e32 v1, 0xbf3504f3, v14
	v_fma_f32 v4, v3, 2.0, -v2
	v_fma_f32 v3, v13, 2.0, -v1
	v_sub_f32_e32 v13, v23, v6
	v_sub_f32_e32 v14, v24, v7
	v_sub_f32_e32 v15, v25, v5
	v_sub_f32_e32 v16, v26, v8
	v_fma_f32 v7, v23, 2.0, -v13
	v_fma_f32 v5, v26, 2.0, -v16
	;; [unrolled: 1-line block ×4, first 2 shown]
	v_sub_f32_e32 v6, v7, v5
	v_sub_f32_e32 v5, v23, v8
	v_fma_f32 v8, v7, 2.0, -v6
	v_fma_f32 v7, v23, 2.0, -v5
	v_mul_u32_u24_e32 v23, 0x230, v20
	v_add3_u32 v22, v22, v23, v21
	ds_write2_b64 v22, v[7:8], v[3:4] offset1:10
	v_mov_b32_e32 v4, v9
	v_mov_b32_e32 v3, v10
	v_fmac_f32_e32 v4, 0x3f3504f3, v11
	v_fmac_f32_e32 v3, 0x3f3504f3, v12
	;; [unrolled: 1-line block ×4, first 2 shown]
	v_fma_f32 v8, v9, 2.0, -v4
	v_fma_f32 v7, v10, 2.0, -v3
	v_add_f32_e32 v10, v13, v14
	v_sub_f32_e32 v9, v15, v16
	v_fma_f32 v12, v13, 2.0, -v10
	v_fma_f32 v11, v15, 2.0, -v9
	ds_write2_b64 v22, v[11:12], v[7:8] offset0:20 offset1:30
	ds_write2_b64 v22, v[5:6], v[1:2] offset0:40 offset1:50
	;; [unrolled: 1-line block ×3, first 2 shown]
.LBB0_2:
	s_or_b64 exec, exec, s[14:15]
	v_and_b32_e32 v15, 7, v20
	v_lshlrev_b32_e32 v9, 5, v15
	s_waitcnt lgkmcnt(0)
	s_barrier
	global_load_dwordx4 v[1:4], v9, s[8:9]
	global_load_dwordx4 v[5:8], v9, s[8:9] offset:16
	ds_read_b64 v[9:10], v19 offset:3200
	ds_read_b64 v[11:12], v19 offset:6400
	ds_read_b64 v[13:14], v19 offset:9600
	s_mul_i32 s1, s13, s19
	s_mul_hi_u32 s7, s12, s19
	s_add_i32 s7, s7, s1
	s_movk_i32 s1, 0xa4
	s_mul_i32 s10, s20, s6
	s_mul_i32 s6, s12, s19
	v_mul_u32_u24_sdwa v0, v0, s1 dst_sel:DWORD dst_unused:UNUSED_PAD src0_sel:WORD_0 src1_sel:DWORD
	v_mul_lo_u16_sdwa v0, v0, s17 dst_sel:DWORD dst_unused:UNUSED_PAD src0_sel:WORD_1 src1_sel:DWORD
	s_waitcnt vmcnt(1) lgkmcnt(2)
	v_mul_f32_e32 v16, v2, v10
	v_mul_f32_e32 v22, v2, v9
	v_fma_f32 v9, v1, v9, -v16
	v_fmac_f32_e32 v22, v1, v10
	s_waitcnt lgkmcnt(1)
	v_mul_f32_e32 v1, v4, v12
	v_mul_f32_e32 v10, v4, v11
	v_fma_f32 v11, v3, v11, -v1
	v_fmac_f32_e32 v10, v3, v12
	ds_read2_b32 v[1:2], v19 offset1:1
	ds_read_b64 v[3:4], v19 offset:12800
	s_waitcnt vmcnt(0) lgkmcnt(2)
	v_mul_f32_e32 v12, v6, v14
	v_mul_f32_e32 v6, v6, v13
	v_fma_f32 v12, v5, v13, -v12
	v_fmac_f32_e32 v6, v5, v14
	s_waitcnt lgkmcnt(0)
	v_mul_f32_e32 v5, v8, v4
	v_mul_f32_e32 v8, v8, v3
	v_fma_f32 v5, v7, v3, -v5
	v_fmac_f32_e32 v8, v7, v4
	v_sub_f32_e32 v4, v9, v11
	v_sub_f32_e32 v13, v5, v12
	v_add_f32_e32 v3, v11, v12
	v_add_f32_e32 v14, v9, v5
	v_sub_f32_e32 v16, v11, v9
	v_add_f32_e32 v13, v4, v13
	v_sub_f32_e32 v4, v12, v5
	v_add_f32_e32 v7, v9, v1
	v_fma_f32 v3, -0.5, v3, v1
	v_fma_f32 v1, -0.5, v14, v1
	v_add_f32_e32 v14, v16, v4
	v_sub_f32_e32 v16, v22, v10
	v_sub_f32_e32 v23, v8, v6
	v_add_f32_e32 v16, v16, v23
	v_add_f32_e32 v23, v2, v22
	;; [unrolled: 1-line block ×5, first 2 shown]
	v_sub_f32_e32 v11, v11, v12
	v_add_f32_e32 v7, v7, v12
	v_add_f32_e32 v12, v23, v10
	v_fma_f32 v4, -0.5, v4, v2
	v_fmac_f32_e32 v2, -0.5, v24
	v_sub_f32_e32 v24, v10, v22
	v_sub_f32_e32 v25, v6, v8
	;; [unrolled: 1-line block ×3, first 2 shown]
	v_add_f32_e32 v6, v12, v6
	v_sub_f32_e32 v12, v22, v8
	v_sub_f32_e32 v22, v9, v5
	v_add_f32_e32 v5, v7, v5
	v_mov_b32_e32 v7, v3
	v_add_f32_e32 v6, v6, v8
	v_fmac_f32_e32 v3, 0xbf737871, v12
	v_mov_b32_e32 v9, v1
	v_fmac_f32_e32 v7, 0x3f737871, v12
	v_mov_b32_e32 v8, v4
	v_fmac_f32_e32 v1, 0x3f737871, v10
	v_fmac_f32_e32 v3, 0xbf167918, v10
	;; [unrolled: 1-line block ×5, first 2 shown]
	v_mov_b32_e32 v10, v2
	v_fmac_f32_e32 v8, 0xbf737871, v22
	v_fmac_f32_e32 v2, 0xbf737871, v11
	v_fmac_f32_e32 v4, 0x3f167918, v11
	v_fmac_f32_e32 v10, 0x3f737871, v11
	v_fmac_f32_e32 v8, 0xbf167918, v11
	v_lshrrev_b32_e32 v11, 3, v20
	v_mul_u32_u24_e32 v11, 40, v11
	v_or_b32_e32 v11, v11, v15
	v_fmac_f32_e32 v1, 0xbf167918, v12
	v_mul_u32_u24_e32 v11, 0x50, v11
	v_add_f32_e32 v24, v24, v25
	v_fmac_f32_e32 v9, 0x3f167918, v12
	v_fmac_f32_e32 v2, 0x3f167918, v22
	;; [unrolled: 1-line block ×6, first 2 shown]
	v_add3_u32 v11, 0, v11, v21
	s_barrier
	v_fmac_f32_e32 v3, 0x3e9e377a, v13
	v_fmac_f32_e32 v4, 0x3e9e377a, v16
	;; [unrolled: 1-line block ×5, first 2 shown]
	ds_write2_b64 v11, v[5:6], v[7:8] offset1:80
	ds_write2_b64 v11, v[9:10], v[1:2] offset0:160 offset1:240
	ds_write_b64 v11, v[3:4] offset:2560
	v_mul_lo_u16_e32 v1, 13, v20
	v_lshrrev_b16_e32 v1, 9, v1
	v_mul_lo_u16_e32 v1, 40, v1
	v_sub_u16_e32 v20, v20, v1
	v_mov_b32_e32 v1, 5
	v_lshlrev_b32_sdwa v9, v1, v20 dst_sel:DWORD dst_unused:UNUSED_PAD src0_sel:DWORD src1_sel:BYTE_0
	s_waitcnt lgkmcnt(0)
	s_barrier
	global_load_dwordx4 v[1:4], v9, s[8:9] offset:256
	global_load_dwordx4 v[5:8], v9, s[8:9] offset:272
	ds_read_b64 v[9:10], v19 offset:3200
	ds_read_b64 v[11:12], v19 offset:6400
	;; [unrolled: 1-line block ×4, first 2 shown]
	v_add_u32_sdwa v0, v20, v0 dst_sel:DWORD dst_unused:UNUSED_PAD src0_sel:BYTE_0 src1_sel:DWORD
	s_waitcnt vmcnt(1) lgkmcnt(3)
	v_mul_f32_e32 v21, v2, v10
	v_mul_f32_e32 v22, v2, v9
	v_fma_f32 v9, v1, v9, -v21
	v_fmac_f32_e32 v22, v1, v10
	s_waitcnt lgkmcnt(2)
	v_mul_f32_e32 v1, v4, v12
	v_mul_f32_e32 v21, v4, v11
	v_fma_f32 v4, v3, v11, -v1
	ds_read2_b32 v[1:2], v19 offset1:1
	v_fmac_f32_e32 v21, v3, v12
	s_waitcnt vmcnt(0) lgkmcnt(2)
	v_mul_f32_e32 v3, v6, v14
	v_mul_f32_e32 v11, v6, v13
	s_waitcnt lgkmcnt(1)
	v_mul_f32_e32 v6, v8, v16
	v_mul_f32_e32 v12, v8, v15
	v_fma_f32 v8, v5, v13, -v3
	v_fma_f32 v6, v7, v15, -v6
	v_fmac_f32_e32 v11, v5, v14
	v_fmac_f32_e32 v12, v7, v16
	v_sub_f32_e32 v7, v9, v4
	v_sub_f32_e32 v14, v6, v8
	s_waitcnt lgkmcnt(0)
	v_add_f32_e32 v5, v9, v1
	v_add_f32_e32 v14, v7, v14
	;; [unrolled: 1-line block ×5, first 2 shown]
	v_sub_f32_e32 v16, v4, v9
	v_sub_f32_e32 v19, v8, v6
	v_add_f32_e32 v5, v5, v4
	v_add_f32_e32 v7, v7, v21
	v_fma_f32 v3, -0.5, v3, v1
	v_fma_f32 v1, -0.5, v15, v1
	v_add_f32_e32 v15, v16, v19
	v_sub_f32_e32 v19, v9, v6
	v_sub_f32_e32 v23, v4, v8
	v_add_f32_e32 v8, v5, v8
	v_add_f32_e32 v9, v7, v11
	v_sub_f32_e32 v10, v22, v12
	v_sub_f32_e32 v13, v21, v11
	v_add_f32_e32 v16, v21, v11
	v_mov_b32_e32 v5, v3
	v_add_f32_e32 v7, v8, v6
	v_add_f32_e32 v8, v9, v12
	v_mov_b32_e32 v9, v1
	v_fma_f32 v4, -0.5, v16, v2
	v_fmac_f32_e32 v3, 0xbf737871, v10
	v_fmac_f32_e32 v1, 0x3f737871, v13
	;; [unrolled: 1-line block ×8, first 2 shown]
	v_sub_f32_e32 v10, v22, v21
	v_mov_b32_e32 v6, v4
	v_sub_f32_e32 v13, v12, v11
	v_fmac_f32_e32 v6, 0xbf737871, v19
	v_add_f32_e32 v10, v10, v13
	v_fmac_f32_e32 v4, 0x3f737871, v19
	v_sub_f32_e32 v13, v21, v22
	v_sub_f32_e32 v11, v11, v12
	v_fmac_f32_e32 v6, 0xbf167918, v23
	v_fmac_f32_e32 v4, 0x3f167918, v23
	v_add_f32_e32 v13, v13, v11
	v_add_co_u32_e32 v11, vcc, s16, v18
	v_fmac_f32_e32 v6, 0x3e9e377a, v10
	v_fmac_f32_e32 v4, 0x3e9e377a, v10
	v_add_f32_e32 v10, v22, v12
	v_addc_co_u32_e64 v12, s[8:9], 0, 0, vcc
	v_fmac_f32_e32 v3, 0x3e9e377a, v14
	v_fmac_f32_e32 v1, 0x3e9e377a, v15
	;; [unrolled: 1-line block ×4, first 2 shown]
	v_mul_lo_u32 v14, v12, s4
	v_mul_lo_u32 v15, v11, s5
	v_mad_u64_u32 v[11:12], s[4:5], v11, s4, 0
	s_lshl_b64 s[4:5], s[6:7], 3
	v_fmac_f32_e32 v2, -0.5, v10
	s_add_u32 s1, s2, s4
	v_mov_b32_e32 v10, v2
	v_add3_u32 v12, v12, v15, v14
	v_mul_lo_u32 v16, v0, s0
	s_addc_u32 s4, s3, s5
	s_lshl_b64 s[2:3], s[10:11], 3
	v_fmac_f32_e32 v10, 0x3f737871, v23
	v_fmac_f32_e32 v2, 0xbf737871, v23
	s_add_u32 s1, s1, s2
	v_lshlrev_b64 v[11:12], 3, v[11:12]
	v_fmac_f32_e32 v10, 0xbf167918, v19
	v_fmac_f32_e32 v2, 0x3f167918, v19
	s_addc_u32 s2, s4, s3
	v_fmac_f32_e32 v10, 0x3e9e377a, v13
	v_fmac_f32_e32 v2, 0x3e9e377a, v13
	v_mov_b32_e32 v0, s2
	v_add_co_u32_e32 v13, vcc, s1, v11
	v_addc_co_u32_e32 v14, vcc, v0, v12, vcc
	v_lshlrev_b64 v[11:12], 3, v[16:17]
	s_mul_i32 s0, s0, 40
	v_add_co_u32_e32 v11, vcc, v13, v11
	v_addc_co_u32_e32 v12, vcc, v14, v12, vcc
	v_add_u32_e32 v16, s0, v16
	global_store_dwordx2 v[11:12], v[7:8], off
	v_lshlrev_b64 v[7:8], 3, v[16:17]
	v_add_u32_e32 v16, s0, v16
	v_add_co_u32_e32 v7, vcc, v13, v7
	v_addc_co_u32_e32 v8, vcc, v14, v8, vcc
	global_store_dwordx2 v[7:8], v[5:6], off
	v_lshlrev_b64 v[5:6], 3, v[16:17]
	v_add_u32_e32 v16, s0, v16
	v_add_co_u32_e32 v5, vcc, v13, v5
	v_addc_co_u32_e32 v6, vcc, v14, v6, vcc
	;; [unrolled: 5-line block ×3, first 2 shown]
	global_store_dwordx2 v[5:6], v[1:2], off
	v_lshlrev_b64 v[0:1], 3, v[16:17]
	v_add_co_u32_e32 v0, vcc, v13, v0
	v_addc_co_u32_e32 v1, vcc, v14, v1, vcc
	global_store_dwordx2 v[0:1], v[3:4], off
	s_endpgm
	.section	.rodata,"a",@progbits
	.p2align	6, 0x0
	.amdhsa_kernel fft_rtc_fwd_len200_factors_8_5_5_wgs_400_tpt_40_sp_op_CI_CI_sbrc_z_xy_diag_dirReg
		.amdhsa_group_segment_fixed_size 0
		.amdhsa_private_segment_fixed_size 0
		.amdhsa_kernarg_size 104
		.amdhsa_user_sgpr_count 6
		.amdhsa_user_sgpr_private_segment_buffer 1
		.amdhsa_user_sgpr_dispatch_ptr 0
		.amdhsa_user_sgpr_queue_ptr 0
		.amdhsa_user_sgpr_kernarg_segment_ptr 1
		.amdhsa_user_sgpr_dispatch_id 0
		.amdhsa_user_sgpr_flat_scratch_init 0
		.amdhsa_user_sgpr_private_segment_size 0
		.amdhsa_uses_dynamic_stack 0
		.amdhsa_system_sgpr_private_segment_wavefront_offset 0
		.amdhsa_system_sgpr_workgroup_id_x 1
		.amdhsa_system_sgpr_workgroup_id_y 0
		.amdhsa_system_sgpr_workgroup_id_z 0
		.amdhsa_system_sgpr_workgroup_info 0
		.amdhsa_system_vgpr_workitem_id 0
		.amdhsa_next_free_vgpr 27
		.amdhsa_next_free_sgpr 24
		.amdhsa_reserve_vcc 1
		.amdhsa_reserve_flat_scratch 0
		.amdhsa_float_round_mode_32 0
		.amdhsa_float_round_mode_16_64 0
		.amdhsa_float_denorm_mode_32 3
		.amdhsa_float_denorm_mode_16_64 3
		.amdhsa_dx10_clamp 1
		.amdhsa_ieee_mode 1
		.amdhsa_fp16_overflow 0
		.amdhsa_exception_fp_ieee_invalid_op 0
		.amdhsa_exception_fp_denorm_src 0
		.amdhsa_exception_fp_ieee_div_zero 0
		.amdhsa_exception_fp_ieee_overflow 0
		.amdhsa_exception_fp_ieee_underflow 0
		.amdhsa_exception_fp_ieee_inexact 0
		.amdhsa_exception_int_div_zero 0
	.end_amdhsa_kernel
	.text
.Lfunc_end0:
	.size	fft_rtc_fwd_len200_factors_8_5_5_wgs_400_tpt_40_sp_op_CI_CI_sbrc_z_xy_diag_dirReg, .Lfunc_end0-fft_rtc_fwd_len200_factors_8_5_5_wgs_400_tpt_40_sp_op_CI_CI_sbrc_z_xy_diag_dirReg
                                        ; -- End function
	.section	.AMDGPU.csdata,"",@progbits
; Kernel info:
; codeLenInByte = 2560
; NumSgprs: 28
; NumVgprs: 27
; ScratchSize: 0
; MemoryBound: 0
; FloatMode: 240
; IeeeMode: 1
; LDSByteSize: 0 bytes/workgroup (compile time only)
; SGPRBlocks: 3
; VGPRBlocks: 6
; NumSGPRsForWavesPerEU: 28
; NumVGPRsForWavesPerEU: 27
; Occupancy: 9
; WaveLimiterHint : 1
; COMPUTE_PGM_RSRC2:SCRATCH_EN: 0
; COMPUTE_PGM_RSRC2:USER_SGPR: 6
; COMPUTE_PGM_RSRC2:TRAP_HANDLER: 0
; COMPUTE_PGM_RSRC2:TGID_X_EN: 1
; COMPUTE_PGM_RSRC2:TGID_Y_EN: 0
; COMPUTE_PGM_RSRC2:TGID_Z_EN: 0
; COMPUTE_PGM_RSRC2:TIDIG_COMP_CNT: 0
	.type	__hip_cuid_cce4157249b8a53a,@object ; @__hip_cuid_cce4157249b8a53a
	.section	.bss,"aw",@nobits
	.globl	__hip_cuid_cce4157249b8a53a
__hip_cuid_cce4157249b8a53a:
	.byte	0                               ; 0x0
	.size	__hip_cuid_cce4157249b8a53a, 1

	.ident	"AMD clang version 19.0.0git (https://github.com/RadeonOpenCompute/llvm-project roc-6.4.0 25133 c7fe45cf4b819c5991fe208aaa96edf142730f1d)"
	.section	".note.GNU-stack","",@progbits
	.addrsig
	.addrsig_sym __hip_cuid_cce4157249b8a53a
	.amdgpu_metadata
---
amdhsa.kernels:
  - .args:
      - .actual_access:  read_only
        .address_space:  global
        .offset:         0
        .size:           8
        .value_kind:     global_buffer
      - .offset:         8
        .size:           8
        .value_kind:     by_value
      - .actual_access:  read_only
        .address_space:  global
        .offset:         16
        .size:           8
        .value_kind:     global_buffer
      - .actual_access:  read_only
        .address_space:  global
        .offset:         24
        .size:           8
        .value_kind:     global_buffer
      - .actual_access:  read_only
        .address_space:  global
        .offset:         32
        .size:           8
        .value_kind:     global_buffer
      - .offset:         40
        .size:           8
        .value_kind:     by_value
      - .actual_access:  read_only
        .address_space:  global
        .offset:         48
        .size:           8
        .value_kind:     global_buffer
      - .actual_access:  read_only
        .address_space:  global
        .offset:         56
        .size:           8
        .value_kind:     global_buffer
      - .offset:         64
        .size:           4
        .value_kind:     by_value
      - .actual_access:  read_only
        .address_space:  global
        .offset:         72
        .size:           8
        .value_kind:     global_buffer
      - .actual_access:  read_only
        .address_space:  global
        .offset:         80
        .size:           8
        .value_kind:     global_buffer
      - .actual_access:  read_only
        .address_space:  global
        .offset:         88
        .size:           8
        .value_kind:     global_buffer
      - .actual_access:  write_only
        .address_space:  global
        .offset:         96
        .size:           8
        .value_kind:     global_buffer
    .group_segment_fixed_size: 0
    .kernarg_segment_align: 8
    .kernarg_segment_size: 104
    .language:       OpenCL C
    .language_version:
      - 2
      - 0
    .max_flat_workgroup_size: 400
    .name:           fft_rtc_fwd_len200_factors_8_5_5_wgs_400_tpt_40_sp_op_CI_CI_sbrc_z_xy_diag_dirReg
    .private_segment_fixed_size: 0
    .sgpr_count:     28
    .sgpr_spill_count: 0
    .symbol:         fft_rtc_fwd_len200_factors_8_5_5_wgs_400_tpt_40_sp_op_CI_CI_sbrc_z_xy_diag_dirReg.kd
    .uniform_work_group_size: 1
    .uses_dynamic_stack: false
    .vgpr_count:     27
    .vgpr_spill_count: 0
    .wavefront_size: 64
amdhsa.target:   amdgcn-amd-amdhsa--gfx906
amdhsa.version:
  - 1
  - 2
...

	.end_amdgpu_metadata
